;; amdgpu-corpus repo=ROCm/rocFFT kind=compiled arch=gfx950 opt=O3
	.text
	.amdgcn_target "amdgcn-amd-amdhsa--gfx950"
	.amdhsa_code_object_version 6
	.protected	fft_rtc_back_len672_factors_2_2_2_2_2_3_7_wgs_56_tpt_56_halfLds_sp_op_CI_CI_sbrr_dirReg ; -- Begin function fft_rtc_back_len672_factors_2_2_2_2_2_3_7_wgs_56_tpt_56_halfLds_sp_op_CI_CI_sbrr_dirReg
	.globl	fft_rtc_back_len672_factors_2_2_2_2_2_3_7_wgs_56_tpt_56_halfLds_sp_op_CI_CI_sbrr_dirReg
	.p2align	8
	.type	fft_rtc_back_len672_factors_2_2_2_2_2_3_7_wgs_56_tpt_56_halfLds_sp_op_CI_CI_sbrr_dirReg,@function
fft_rtc_back_len672_factors_2_2_2_2_2_3_7_wgs_56_tpt_56_halfLds_sp_op_CI_CI_sbrr_dirReg: ; @fft_rtc_back_len672_factors_2_2_2_2_2_3_7_wgs_56_tpt_56_halfLds_sp_op_CI_CI_sbrr_dirReg
; %bb.0:
	s_load_dwordx4 s[12:15], s[0:1], 0x18
	s_load_dwordx4 s[4:7], s[0:1], 0x0
	;; [unrolled: 1-line block ×3, first 2 shown]
	v_mul_u32_u24_e32 v1, 0x493, v0
	v_add_u32_sdwa v6, s2, v1 dst_sel:DWORD dst_unused:UNUSED_PAD src0_sel:DWORD src1_sel:WORD_1
	s_waitcnt lgkmcnt(0)
	s_load_dwordx2 s[18:19], s[12:13], 0x0
	s_load_dwordx2 s[16:17], s[14:15], 0x0
	v_mov_b32_e32 v4, 0
	v_cmp_lt_u64_e64 s[2:3], s[6:7], 2
	v_mov_b32_e32 v7, v4
	s_and_b64 vcc, exec, s[2:3]
	v_mov_b64_e32 v[2:3], 0
	s_cbranch_vccnz .LBB0_8
; %bb.1:
	s_load_dwordx2 s[2:3], s[0:1], 0x10
	s_add_u32 s20, s14, 8
	s_addc_u32 s21, s15, 0
	s_add_u32 s22, s12, 8
	s_addc_u32 s23, s13, 0
	s_waitcnt lgkmcnt(0)
	s_add_u32 s24, s2, 8
	v_mov_b64_e32 v[2:3], 0
	s_addc_u32 s25, s3, 0
	s_mov_b64 s[26:27], 1
	v_mov_b64_e32 v[12:13], v[2:3]
.LBB0_2:                                ; =>This Inner Loop Header: Depth=1
	s_load_dwordx2 s[28:29], s[24:25], 0x0
                                        ; implicit-def: $vgpr14_vgpr15
	s_waitcnt lgkmcnt(0)
	v_or_b32_e32 v5, s29, v7
	v_cmp_ne_u64_e32 vcc, 0, v[4:5]
	s_and_saveexec_b64 s[2:3], vcc
	s_xor_b64 s[30:31], exec, s[2:3]
	s_cbranch_execz .LBB0_4
; %bb.3:                                ;   in Loop: Header=BB0_2 Depth=1
	v_cvt_f32_u32_e32 v1, s28
	v_cvt_f32_u32_e32 v5, s29
	s_sub_u32 s2, 0, s28
	s_subb_u32 s3, 0, s29
	v_fmac_f32_e32 v1, 0x4f800000, v5
	v_rcp_f32_e32 v1, v1
	s_nop 0
	v_mul_f32_e32 v1, 0x5f7ffffc, v1
	v_mul_f32_e32 v5, 0x2f800000, v1
	v_trunc_f32_e32 v5, v5
	v_fmac_f32_e32 v1, 0xcf800000, v5
	v_cvt_u32_f32_e32 v5, v5
	v_cvt_u32_f32_e32 v1, v1
	v_mul_lo_u32 v8, s2, v5
	v_mul_hi_u32 v10, s2, v1
	v_mul_lo_u32 v9, s3, v1
	v_add_u32_e32 v10, v10, v8
	v_mul_lo_u32 v14, s2, v1
	v_add_u32_e32 v15, v10, v9
	v_mul_hi_u32 v8, v1, v14
	v_mul_hi_u32 v11, v1, v15
	v_mul_lo_u32 v10, v1, v15
	v_mov_b32_e32 v9, v4
	v_lshl_add_u64 v[8:9], v[8:9], 0, v[10:11]
	v_mul_hi_u32 v11, v5, v14
	v_mul_lo_u32 v14, v5, v14
	v_add_co_u32_e32 v8, vcc, v8, v14
	v_mul_hi_u32 v10, v5, v15
	s_nop 0
	v_addc_co_u32_e32 v8, vcc, v9, v11, vcc
	v_mov_b32_e32 v9, v4
	s_nop 0
	v_addc_co_u32_e32 v11, vcc, 0, v10, vcc
	v_mul_lo_u32 v10, v5, v15
	v_lshl_add_u64 v[8:9], v[8:9], 0, v[10:11]
	v_add_co_u32_e32 v1, vcc, v1, v8
	v_mul_lo_u32 v10, s2, v1
	s_nop 0
	v_addc_co_u32_e32 v5, vcc, v5, v9, vcc
	v_mul_lo_u32 v8, s2, v5
	v_mul_hi_u32 v9, s2, v1
	v_add_u32_e32 v8, v9, v8
	v_mul_lo_u32 v9, s3, v1
	v_add_u32_e32 v14, v8, v9
	v_mul_hi_u32 v16, v5, v10
	v_mul_lo_u32 v17, v5, v10
	v_mul_hi_u32 v9, v1, v14
	v_mul_lo_u32 v8, v1, v14
	v_mul_hi_u32 v10, v1, v10
	v_mov_b32_e32 v11, v4
	v_lshl_add_u64 v[8:9], v[10:11], 0, v[8:9]
	v_add_co_u32_e32 v8, vcc, v8, v17
	v_mul_hi_u32 v15, v5, v14
	s_nop 0
	v_addc_co_u32_e32 v8, vcc, v9, v16, vcc
	v_mul_lo_u32 v10, v5, v14
	s_nop 0
	v_addc_co_u32_e32 v11, vcc, 0, v15, vcc
	v_mov_b32_e32 v9, v4
	v_lshl_add_u64 v[8:9], v[8:9], 0, v[10:11]
	v_add_co_u32_e32 v1, vcc, v1, v8
	v_mul_hi_u32 v10, v6, v1
	s_nop 0
	v_addc_co_u32_e32 v5, vcc, v5, v9, vcc
	v_mad_u64_u32 v[8:9], s[2:3], v6, v5, 0
	v_mov_b32_e32 v11, v4
	v_lshl_add_u64 v[8:9], v[10:11], 0, v[8:9]
	v_mad_u64_u32 v[14:15], s[2:3], v7, v1, 0
	v_add_co_u32_e32 v1, vcc, v8, v14
	v_mad_u64_u32 v[10:11], s[2:3], v7, v5, 0
	s_nop 0
	v_addc_co_u32_e32 v8, vcc, v9, v15, vcc
	v_mov_b32_e32 v9, v4
	s_nop 0
	v_addc_co_u32_e32 v11, vcc, 0, v11, vcc
	v_lshl_add_u64 v[8:9], v[8:9], 0, v[10:11]
	v_mul_lo_u32 v1, s29, v8
	v_mul_lo_u32 v5, s28, v9
	v_mad_u64_u32 v[10:11], s[2:3], s28, v8, 0
	v_add3_u32 v1, v11, v5, v1
	v_sub_u32_e32 v5, v7, v1
	v_mov_b32_e32 v11, s29
	v_sub_co_u32_e32 v16, vcc, v6, v10
	v_lshl_add_u64 v[14:15], v[8:9], 0, 1
	s_nop 0
	v_subb_co_u32_e64 v5, s[2:3], v5, v11, vcc
	v_subrev_co_u32_e64 v10, s[2:3], s28, v16
	v_subb_co_u32_e32 v1, vcc, v7, v1, vcc
	s_nop 0
	v_subbrev_co_u32_e64 v5, s[2:3], 0, v5, s[2:3]
	v_cmp_le_u32_e64 s[2:3], s29, v5
	v_cmp_le_u32_e32 vcc, s29, v1
	s_nop 0
	v_cndmask_b32_e64 v11, 0, -1, s[2:3]
	v_cmp_le_u32_e64 s[2:3], s28, v10
	s_nop 1
	v_cndmask_b32_e64 v10, 0, -1, s[2:3]
	v_cmp_eq_u32_e64 s[2:3], s29, v5
	s_nop 1
	v_cndmask_b32_e64 v5, v11, v10, s[2:3]
	v_lshl_add_u64 v[10:11], v[8:9], 0, 2
	v_cmp_ne_u32_e64 s[2:3], 0, v5
	s_nop 1
	v_cndmask_b32_e64 v5, v15, v11, s[2:3]
	v_cndmask_b32_e64 v11, 0, -1, vcc
	v_cmp_le_u32_e32 vcc, s28, v16
	s_nop 1
	v_cndmask_b32_e64 v15, 0, -1, vcc
	v_cmp_eq_u32_e32 vcc, s29, v1
	s_nop 1
	v_cndmask_b32_e32 v1, v11, v15, vcc
	v_cmp_ne_u32_e32 vcc, 0, v1
	v_cndmask_b32_e64 v1, v14, v10, s[2:3]
	s_nop 0
	v_cndmask_b32_e32 v15, v9, v5, vcc
	v_cndmask_b32_e32 v14, v8, v1, vcc
.LBB0_4:                                ;   in Loop: Header=BB0_2 Depth=1
	s_andn2_saveexec_b64 s[2:3], s[30:31]
	s_cbranch_execz .LBB0_6
; %bb.5:                                ;   in Loop: Header=BB0_2 Depth=1
	v_cvt_f32_u32_e32 v1, s28
	s_sub_i32 s30, 0, s28
	v_mov_b32_e32 v15, v4
	v_rcp_iflag_f32_e32 v1, v1
	s_nop 0
	v_mul_f32_e32 v1, 0x4f7ffffe, v1
	v_cvt_u32_f32_e32 v1, v1
	v_mul_lo_u32 v5, s30, v1
	v_mul_hi_u32 v5, v1, v5
	v_add_u32_e32 v1, v1, v5
	v_mul_hi_u32 v1, v6, v1
	v_mul_lo_u32 v5, v1, s28
	v_sub_u32_e32 v5, v6, v5
	v_add_u32_e32 v8, 1, v1
	v_subrev_u32_e32 v9, s28, v5
	v_cmp_le_u32_e32 vcc, s28, v5
	s_nop 1
	v_cndmask_b32_e32 v5, v5, v9, vcc
	v_cndmask_b32_e32 v1, v1, v8, vcc
	v_add_u32_e32 v8, 1, v1
	v_cmp_le_u32_e32 vcc, s28, v5
	s_nop 1
	v_cndmask_b32_e32 v14, v1, v8, vcc
.LBB0_6:                                ;   in Loop: Header=BB0_2 Depth=1
	s_or_b64 exec, exec, s[2:3]
	v_mad_u64_u32 v[8:9], s[2:3], v14, s28, 0
	s_load_dwordx2 s[2:3], s[22:23], 0x0
	v_mul_lo_u32 v1, v15, s28
	v_mul_lo_u32 v5, v14, s29
	s_load_dwordx2 s[28:29], s[20:21], 0x0
	s_add_u32 s26, s26, 1
	v_add3_u32 v1, v9, v5, v1
	v_sub_co_u32_e32 v5, vcc, v6, v8
	s_addc_u32 s27, s27, 0
	s_nop 0
	v_subb_co_u32_e32 v1, vcc, v7, v1, vcc
	s_add_u32 s20, s20, 8
	s_waitcnt lgkmcnt(0)
	v_mul_lo_u32 v6, s2, v1
	v_mul_lo_u32 v7, s3, v5
	v_mad_u64_u32 v[2:3], s[2:3], s2, v5, v[2:3]
	s_addc_u32 s21, s21, 0
	v_add3_u32 v3, v7, v3, v6
	v_mul_lo_u32 v1, s28, v1
	v_mul_lo_u32 v6, s29, v5
	v_mad_u64_u32 v[12:13], s[2:3], s28, v5, v[12:13]
	s_add_u32 s22, s22, 8
	v_add3_u32 v13, v6, v13, v1
	s_addc_u32 s23, s23, 0
	v_mov_b64_e32 v[6:7], s[6:7]
	s_add_u32 s24, s24, 8
	v_cmp_ge_u64_e32 vcc, s[26:27], v[6:7]
	s_addc_u32 s25, s25, 0
	s_cbranch_vccnz .LBB0_9
; %bb.7:                                ;   in Loop: Header=BB0_2 Depth=1
	v_mov_b64_e32 v[6:7], v[14:15]
	s_branch .LBB0_2
.LBB0_8:
	v_mov_b64_e32 v[12:13], v[2:3]
	v_mov_b64_e32 v[14:15], v[6:7]
.LBB0_9:
	s_load_dwordx2 s[0:1], s[0:1], 0x28
	s_lshl_b64 s[6:7], s[6:7], 3
	s_add_u32 s2, s14, s6
	s_addc_u32 s3, s15, s7
                                        ; implicit-def: $sgpr14_sgpr15
                                        ; implicit-def: $vgpr50
                                        ; implicit-def: $vgpr51
                                        ; implicit-def: $vgpr32
                                        ; implicit-def: $vgpr33
                                        ; implicit-def: $vgpr34
                                        ; implicit-def: $vgpr1
	s_waitcnt lgkmcnt(0)
	v_cmp_gt_u64_e32 vcc, s[0:1], v[14:15]
	v_cmp_le_u64_e64 s[0:1], s[0:1], v[14:15]
	s_and_saveexec_b64 s[20:21], s[0:1]
	s_xor_b64 s[0:1], exec, s[20:21]
; %bb.10:
	s_mov_b32 s14, 0x4924925
	v_mul_hi_u32 v1, v0, s14
	v_mul_u32_u24_e32 v1, 56, v1
	v_sub_u32_e32 v50, v0, v1
	v_add_u32_e32 v51, 56, v50
	v_add_u32_e32 v32, 0x70, v50
	;; [unrolled: 1-line block ×5, first 2 shown]
	s_mov_b64 s[14:15], 0
                                        ; implicit-def: $vgpr0
                                        ; implicit-def: $vgpr2_vgpr3
; %bb.11:
	s_or_saveexec_b64 s[0:1], s[0:1]
	v_mov_b64_e32 v[4:5], s[14:15]
	v_mov_b64_e32 v[6:7], s[14:15]
	;; [unrolled: 1-line block ×6, first 2 shown]
                                        ; implicit-def: $vgpr8
                                        ; implicit-def: $vgpr20
                                        ; implicit-def: $vgpr30
                                        ; implicit-def: $vgpr28
                                        ; implicit-def: $vgpr22
                                        ; implicit-def: $vgpr10
	s_xor_b64 exec, exec, s[0:1]
	s_cbranch_execz .LBB0_13
; %bb.12:
	s_add_u32 s6, s12, s6
	s_addc_u32 s7, s13, s7
	s_load_dwordx2 s[6:7], s[6:7], 0x0
	s_mov_b32 s12, 0x4924925
	s_waitcnt lgkmcnt(0)
	v_mul_lo_u32 v1, s7, v14
	v_mul_lo_u32 v6, s6, v15
	v_mad_u64_u32 v[4:5], s[6:7], s6, v14, 0
	v_add3_u32 v5, v5, v6, v1
	v_mul_hi_u32 v1, v0, s12
	v_mul_u32_u24_e32 v1, 56, v1
	v_sub_u32_e32 v50, v0, v1
	v_mad_u64_u32 v[0:1], s[6:7], s18, v50, 0
	v_mov_b32_e32 v6, v1
	v_mad_u64_u32 v[6:7], s[6:7], s19, v50, v[6:7]
	v_lshl_add_u64 v[4:5], v[4:5], 3, s[8:9]
	v_add_u32_e32 v7, 0x150, v50
	v_lshl_add_u64 v[2:3], v[2:3], 3, v[4:5]
	v_mad_u64_u32 v[4:5], s[6:7], s18, v7, 0
	v_mov_b32_e32 v1, v6
	v_mov_b32_e32 v6, v5
	v_mad_u64_u32 v[6:7], s[6:7], s19, v7, v[6:7]
	v_mov_b32_e32 v5, v6
	v_add_u32_e32 v51, 56, v50
	v_lshl_add_u64 v[16:17], v[4:5], 3, v[2:3]
	v_mad_u64_u32 v[4:5], s[6:7], s18, v51, 0
	v_mov_b32_e32 v6, v5
	v_mad_u64_u32 v[6:7], s[6:7], s19, v51, v[6:7]
	v_mov_b32_e32 v5, v6
	v_add_u32_e32 v7, 0x188, v50
	v_lshl_add_u64 v[18:19], v[4:5], 3, v[2:3]
	v_mad_u64_u32 v[4:5], s[6:7], s18, v7, 0
	v_mov_b32_e32 v6, v5
	v_mad_u64_u32 v[6:7], s[6:7], s19, v7, v[6:7]
	v_lshl_add_u64 v[0:1], v[0:1], 3, v[2:3]
	v_mov_b32_e32 v5, v6
	v_add_u32_e32 v32, 0x70, v50
	v_lshl_add_u64 v[20:21], v[4:5], 3, v[2:3]
	global_load_dwordx2 v[4:5], v[0:1], off
	global_load_dwordx2 v[8:9], v[16:17], off
	;; [unrolled: 1-line block ×4, first 2 shown]
	v_mad_u64_u32 v[0:1], s[6:7], s18, v32, 0
	v_mov_b32_e32 v16, v1
	v_mad_u64_u32 v[16:17], s[6:7], s19, v32, v[16:17]
	v_or_b32_e32 v19, 0x1c0, v50
	v_mov_b32_e32 v1, v16
	v_mad_u64_u32 v[16:17], s[6:7], s18, v19, 0
	v_mov_b32_e32 v18, v17
	v_mad_u64_u32 v[18:19], s[6:7], s19, v19, v[18:19]
	v_mov_b32_e32 v17, v18
	v_add_u32_e32 v33, 0xa8, v50
	v_lshl_add_u64 v[24:25], v[16:17], 3, v[2:3]
	v_mad_u64_u32 v[16:17], s[6:7], s18, v33, 0
	v_mov_b32_e32 v18, v17
	v_mad_u64_u32 v[18:19], s[6:7], s19, v33, v[18:19]
	v_mov_b32_e32 v17, v18
	v_add_u32_e32 v19, 0x1f8, v50
	v_lshl_add_u64 v[26:27], v[16:17], 3, v[2:3]
	v_mad_u64_u32 v[16:17], s[6:7], s18, v19, 0
	v_mov_b32_e32 v18, v17
	v_mad_u64_u32 v[18:19], s[6:7], s19, v19, v[18:19]
	v_lshl_add_u64 v[0:1], v[0:1], 3, v[2:3]
	v_mov_b32_e32 v17, v18
	v_add_u32_e32 v34, 0xe0, v50
	v_lshl_add_u64 v[28:29], v[16:17], 3, v[2:3]
	global_load_dwordx2 v[18:19], v[0:1], off
	global_load_dwordx2 v[22:23], v[24:25], off
	;; [unrolled: 1-line block ×4, first 2 shown]
	v_mad_u64_u32 v[0:1], s[6:7], s18, v34, 0
	v_mov_b32_e32 v24, v1
	v_mad_u64_u32 v[24:25], s[6:7], s19, v34, v[24:25]
	v_mov_b32_e32 v1, v24
	v_add_u32_e32 v25, 0x230, v50
	v_lshl_add_u64 v[36:37], v[0:1], 3, v[2:3]
	v_mad_u64_u32 v[0:1], s[6:7], s18, v25, 0
	v_mov_b32_e32 v24, v1
	v_mad_u64_u32 v[24:25], s[6:7], s19, v25, v[24:25]
	v_mov_b32_e32 v1, v24
	v_lshl_add_u64 v[38:39], v[0:1], 3, v[2:3]
	v_add_u32_e32 v1, 0x118, v50
	v_mad_u64_u32 v[24:25], s[6:7], s18, v1, 0
	v_mov_b32_e32 v0, v25
	v_mad_u64_u32 v[26:27], s[6:7], s19, v1, v[0:1]
	v_mov_b32_e32 v25, v26
	v_add_u32_e32 v26, 0x268, v50
	v_lshl_add_u64 v[40:41], v[24:25], 3, v[2:3]
	v_mad_u64_u32 v[24:25], s[6:7], s18, v26, 0
	v_mov_b32_e32 v0, v25
	v_mad_u64_u32 v[26:27], s[6:7], s19, v26, v[0:1]
	v_mov_b32_e32 v25, v26
	v_lshl_add_u64 v[2:3], v[24:25], 3, v[2:3]
	global_load_dwordx2 v[24:25], v[36:37], off
	global_load_dwordx2 v[30:31], v[38:39], off
	;; [unrolled: 1-line block ×4, first 2 shown]
.LBB0_13:
	s_or_b64 exec, exec, s[0:1]
	s_waitcnt vmcnt(10)
	v_sub_f32_e32 v37, v5, v9
	s_waitcnt vmcnt(8)
	v_sub_f32_e32 v11, v7, v11
	;; [unrolled: 2-line block ×3, first 2 shown]
	v_sub_f32_e32 v3, v4, v8
	v_fma_f32 v36, v5, 2.0, -v37
	v_sub_f32_e32 v5, v6, v10
	v_fma_f32 v10, v7, 2.0, -v11
	;; [unrolled: 2-line block ×3, first 2 shown]
	s_waitcnt vmcnt(4)
	v_sub_f32_e32 v19, v17, v21
	v_fma_f32 v2, v4, 2.0, -v3
	v_fma_f32 v4, v6, 2.0, -v5
	;; [unrolled: 1-line block ×4, first 2 shown]
	s_waitcnt vmcnt(2)
	v_sub_f32_e32 v17, v24, v30
	v_lshl_add_u32 v30, v50, 3, 0
	v_sub_f32_e32 v9, v16, v20
	v_sub_f32_e32 v21, v25, v31
	ds_write_b64 v30, v[2:3]
	v_lshl_add_u32 v2, v51, 3, 0
	v_lshlrev_b32_e32 v0, 2, v50
	v_fma_f32 v8, v16, 2.0, -v9
	v_fma_f32 v20, v25, 2.0, -v21
	s_waitcnt vmcnt(0)
	v_sub_f32_e32 v25, v26, v28
	ds_write_b64 v2, v[4:5]
	v_lshl_add_u32 v31, v32, 3, 0
	v_lshl_add_u32 v35, v33, 3, 0
	v_sub_u32_e32 v4, v30, v0
	v_lshlrev_b32_e32 v5, 2, v51
	v_fma_f32 v16, v24, 2.0, -v17
	v_sub_f32_e32 v29, v27, v29
	v_fma_f32 v24, v26, 2.0, -v25
	ds_write_b64 v31, v[6:7]
	ds_write_b64 v35, v[8:9]
	v_lshl_add_u32 v9, v34, 3, 0
	v_lshl_add_u32 v38, v1, 3, 0
	v_add_u32_e32 v6, 0x400, v4
	v_sub_u32_e32 v0, v2, v5
	v_lshlrev_b32_e32 v3, 2, v32
	v_lshlrev_b32_e32 v7, 2, v33
	;; [unrolled: 1-line block ×3, first 2 shown]
	v_add_u32_e32 v43, 0x800, v4
	v_lshlrev_b32_e32 v44, 2, v1
	s_load_dwordx2 s[6:7], s[2:3], 0x0
	v_fma_f32 v28, v27, 2.0, -v29
	ds_write_b64 v9, v[16:17]
	ds_write_b64 v38, v[24:25]
	s_waitcnt lgkmcnt(0)
	; wave barrier
	s_waitcnt lgkmcnt(0)
	ds_read2_b32 v[16:17], v6 offset0:80 offset1:136
	v_sub_u32_e32 v3, v31, v3
	ds_read2_b32 v[24:25], v6 offset0:192 offset1:248
	v_sub_u32_e32 v7, v35, v7
	v_sub_u32_e32 v8, v9, v8
	ds_read_b32 v39, v0
	ds_read_b32 v40, v3
	;; [unrolled: 1-line block ×4, first 2 shown]
	ds_read2_b32 v[26:27], v43 offset0:48 offset1:104
	v_sub_u32_e32 v44, v38, v44
	ds_read_b32 v45, v4
	ds_read_b32 v46, v44
	s_waitcnt lgkmcnt(0)
	; wave barrier
	s_waitcnt lgkmcnt(0)
	ds_write_b64 v30, v[36:37]
	ds_write_b64 v2, v[10:11]
	;; [unrolled: 1-line block ×6, first 2 shown]
	v_and_b32_e32 v9, 1, v50
	v_lshlrev_b32_e32 v10, 3, v9
	s_waitcnt lgkmcnt(0)
	; wave barrier
	s_waitcnt lgkmcnt(0)
	global_load_dwordx2 v[10:11], v10, s[4:5]
	v_lshlrev_b32_e32 v48, 1, v34
	ds_read_b32 v28, v4
	ds_read2_b32 v[18:19], v6 offset0:80 offset1:136
	ds_read2_b32 v[20:21], v6 offset0:192 offset1:248
	;; [unrolled: 1-line block ×3, first 2 shown]
	ds_read_b32 v29, v0
	ds_read_b32 v30, v3
	;; [unrolled: 1-line block ×5, first 2 shown]
	v_lshlrev_b32_e32 v36, 1, v50
	s_movk_i32 s0, 0x7c
	v_lshlrev_b32_e32 v37, 1, v51
	v_lshlrev_b32_e32 v38, 1, v32
	s_waitcnt lgkmcnt(0)
	; wave barrier
	s_waitcnt lgkmcnt(0)
	v_lshlrev_b32_e32 v47, 1, v33
	v_lshlrev_b32_e32 v49, 1, v1
	v_and_b32_e32 v1, 15, v1
	s_movk_i32 s1, 0xe0
	v_and_b32_e32 v59, 31, v51
	v_and_b32_e32 v60, 31, v32
	;; [unrolled: 1-line block ×3, first 2 shown]
	s_mov_b32 s2, 0x3f5db3d7
	v_sub_u32_e32 v5, 0, v5
	s_waitcnt vmcnt(0)
	v_mul_f32_e32 v52, v18, v11
	v_fmac_f32_e32 v52, v16, v10
	v_mul_f32_e32 v16, v16, v11
	v_fma_f32 v16, v18, v10, -v16
	v_mul_f32_e32 v18, v19, v11
	v_fmac_f32_e32 v18, v17, v10
	v_mul_f32_e32 v17, v17, v11
	v_fma_f32 v17, v19, v10, -v17
	;; [unrolled: 4-line block ×5, first 2 shown]
	v_mul_f32_e32 v26, v23, v11
	v_mul_f32_e32 v11, v27, v11
	v_fmac_f32_e32 v26, v27, v10
	v_fma_f32 v10, v23, v10, -v11
	v_sub_f32_e32 v11, v45, v52
	v_sub_f32_e32 v23, v28, v16
	v_fma_f32 v16, v45, 2.0, -v11
	v_and_or_b32 v45, v36, s0, v9
	v_lshl_add_u32 v45, v45, 2, 0
	s_movk_i32 s0, 0xfc
	v_sub_f32_e32 v18, v39, v18
	v_sub_f32_e32 v19, v40, v19
	;; [unrolled: 1-line block ×5, first 2 shown]
	ds_write2_b32 v45, v16, v11 offset1:2
	v_and_or_b32 v11, v37, s0, v9
	s_movk_i32 s0, 0x1fc
	v_fma_f32 v27, v28, 2.0, -v23
	v_sub_f32_e32 v28, v29, v17
	v_fma_f32 v17, v39, 2.0, -v18
	v_fma_f32 v39, v40, 2.0, -v19
	;; [unrolled: 1-line block ×4, first 2 shown]
	v_sub_f32_e32 v42, v35, v10
	v_fma_f32 v10, v46, 2.0, -v26
	v_lshl_add_u32 v46, v11, 2, 0
	v_and_or_b32 v11, v38, s0, v9
	v_lshl_add_u32 v52, v11, 2, 0
	v_and_or_b32 v11, v47, s0, v9
	s_movk_i32 s0, 0x3fc
	ds_write2_b32 v46, v17, v18 offset1:2
	ds_write2_b32 v52, v39, v19 offset1:2
	v_lshl_add_u32 v39, v11, 2, 0
	v_and_or_b32 v11, v48, s0, v9
	s_movk_i32 s0, 0x2fc
	v_and_or_b32 v9, v49, s0, v9
	v_sub_f32_e32 v20, v30, v20
	v_sub_f32_e32 v21, v31, v21
	;; [unrolled: 1-line block ×3, first 2 shown]
	ds_write2_b32 v39, v40, v24 offset1:2
	v_lshl_add_u32 v24, v11, 2, 0
	v_lshl_add_u32 v9, v9, 2, 0
	v_fma_f32 v29, v29, 2.0, -v28
	v_fma_f32 v30, v30, 2.0, -v20
	;; [unrolled: 1-line block ×5, first 2 shown]
	ds_write2_b32 v24, v41, v25 offset1:2
	ds_write2_b32 v9, v10, v26 offset1:2
	s_waitcnt lgkmcnt(0)
	; wave barrier
	s_waitcnt lgkmcnt(0)
	ds_read2_b32 v[10:11], v6 offset0:80 offset1:136
	ds_read2_b32 v[16:17], v6 offset0:192 offset1:248
	ds_read_b32 v40, v0
	ds_read_b32 v41, v3
	;; [unrolled: 1-line block ×4, first 2 shown]
	ds_read2_b32 v[18:19], v43 offset0:48 offset1:104
	ds_read_b32 v55, v4
	ds_read_b32 v56, v44
	s_waitcnt lgkmcnt(0)
	; wave barrier
	s_waitcnt lgkmcnt(0)
	ds_write2_b32 v45, v27, v23 offset1:2
	ds_write2_b32 v46, v29, v28 offset1:2
	ds_write2_b32 v52, v30, v20 offset1:2
	ds_write2_b32 v39, v31, v21 offset1:2
	ds_write2_b32 v24, v34, v22 offset1:2
	ds_write2_b32 v9, v35, v42 offset1:2
	v_and_b32_e32 v9, 3, v50
	v_lshlrev_b32_e32 v20, 3, v9
	s_waitcnt lgkmcnt(0)
	; wave barrier
	s_waitcnt lgkmcnt(0)
	global_load_dwordx2 v[20:21], v20, s[4:5] offset:16
	ds_read_b32 v28, v4
	ds_read2_b32 v[22:23], v6 offset0:80 offset1:136
	ds_read2_b32 v[24:25], v6 offset0:192 offset1:248
	;; [unrolled: 1-line block ×3, first 2 shown]
	ds_read_b32 v29, v0
	ds_read_b32 v30, v3
	;; [unrolled: 1-line block ×5, first 2 shown]
	s_movk_i32 s0, 0x78
	v_and_or_b32 v45, v36, s0, v9
	v_lshl_add_u32 v45, v45, 2, 0
	s_movk_i32 s0, 0xf8
	s_waitcnt lgkmcnt(0)
	; wave barrier
	s_waitcnt vmcnt(0) lgkmcnt(0)
	v_mul_f32_e32 v39, v22, v21
	v_fmac_f32_e32 v39, v10, v20
	v_mul_f32_e32 v10, v10, v21
	v_fma_f32 v10, v22, v20, -v10
	v_mul_f32_e32 v22, v23, v21
	v_fmac_f32_e32 v22, v11, v20
	v_mul_f32_e32 v11, v11, v21
	v_fma_f32 v11, v23, v20, -v11
	;; [unrolled: 4-line block ×6, first 2 shown]
	v_sub_f32_e32 v20, v55, v39
	v_sub_f32_e32 v21, v28, v10
	v_fma_f32 v10, v55, 2.0, -v20
	v_sub_f32_e32 v22, v40, v22
	ds_write2_b32 v45, v10, v20 offset1:4
	v_and_or_b32 v10, v37, s0, v9
	s_movk_i32 s0, 0x1f8
	v_fma_f32 v27, v28, 2.0, -v21
	v_sub_f32_e32 v28, v29, v11
	v_fma_f32 v11, v40, 2.0, -v22
	v_sub_f32_e32 v23, v41, v23
	v_lshl_add_u32 v20, v10, 2, 0
	v_and_or_b32 v10, v38, s0, v9
	v_sub_f32_e32 v39, v30, v16
	v_fma_f32 v16, v41, 2.0, -v23
	ds_write2_b32 v20, v11, v22 offset1:4
	v_lshl_add_u32 v22, v10, 2, 0
	v_and_or_b32 v10, v47, s0, v9
	s_movk_i32 s0, 0x3f8
	v_sub_f32_e32 v24, v53, v24
	ds_write2_b32 v22, v16, v23 offset1:4
	v_lshl_add_u32 v23, v10, 2, 0
	v_and_or_b32 v10, v48, s0, v9
	s_movk_i32 s0, 0x2f8
	v_sub_f32_e32 v40, v31, v17
	v_fma_f32 v17, v53, 2.0, -v24
	v_sub_f32_e32 v25, v54, v25
	v_sub_f32_e32 v26, v56, v26
	v_and_or_b32 v9, v49, s0, v9
	v_sub_f32_e32 v41, v34, v18
	v_fma_f32 v18, v54, 2.0, -v25
	v_sub_f32_e32 v42, v35, v19
	v_fma_f32 v19, v56, 2.0, -v26
	ds_write2_b32 v23, v17, v24 offset1:4
	v_lshl_add_u32 v24, v10, 2, 0
	v_lshl_add_u32 v9, v9, 2, 0
	v_fma_f32 v29, v29, 2.0, -v28
	v_fma_f32 v30, v30, 2.0, -v39
	;; [unrolled: 1-line block ×5, first 2 shown]
	ds_write2_b32 v24, v18, v25 offset1:4
	ds_write2_b32 v9, v19, v26 offset1:4
	s_waitcnt lgkmcnt(0)
	; wave barrier
	s_waitcnt lgkmcnt(0)
	ds_read2_b32 v[10:11], v6 offset0:80 offset1:136
	ds_read2_b32 v[16:17], v6 offset0:192 offset1:248
	ds_read_b32 v46, v0
	ds_read_b32 v52, v3
	;; [unrolled: 1-line block ×4, first 2 shown]
	ds_read2_b32 v[18:19], v43 offset0:48 offset1:104
	ds_read_b32 v55, v4
	ds_read_b32 v56, v44
	s_waitcnt lgkmcnt(0)
	; wave barrier
	s_waitcnt lgkmcnt(0)
	ds_write2_b32 v45, v27, v21 offset1:4
	ds_write2_b32 v20, v29, v28 offset1:4
	;; [unrolled: 1-line block ×6, first 2 shown]
	v_and_b32_e32 v9, 7, v50
	v_lshlrev_b32_e32 v20, 3, v9
	s_waitcnt lgkmcnt(0)
	; wave barrier
	s_waitcnt lgkmcnt(0)
	global_load_dwordx2 v[20:21], v20, s[4:5] offset:48
	ds_read_b32 v28, v4
	ds_read2_b32 v[22:23], v6 offset0:80 offset1:136
	ds_read2_b32 v[24:25], v6 offset0:192 offset1:248
	;; [unrolled: 1-line block ×3, first 2 shown]
	ds_read_b32 v29, v0
	ds_read_b32 v30, v3
	;; [unrolled: 1-line block ×5, first 2 shown]
	s_movk_i32 s0, 0x70
	v_and_or_b32 v45, v36, s0, v9
	v_lshl_add_u32 v45, v45, 2, 0
	s_movk_i32 s0, 0xf0
	s_waitcnt lgkmcnt(0)
	; wave barrier
	s_waitcnt vmcnt(0) lgkmcnt(0)
	v_mul_f32_e32 v39, v22, v21
	v_fmac_f32_e32 v39, v10, v20
	v_mul_f32_e32 v10, v10, v21
	v_fma_f32 v10, v22, v20, -v10
	v_mul_f32_e32 v22, v23, v21
	v_fmac_f32_e32 v22, v11, v20
	v_mul_f32_e32 v11, v11, v21
	v_fma_f32 v11, v23, v20, -v11
	;; [unrolled: 4-line block ×6, first 2 shown]
	v_sub_f32_e32 v20, v55, v39
	v_sub_f32_e32 v21, v28, v10
	v_fma_f32 v10, v55, 2.0, -v20
	v_sub_f32_e32 v22, v46, v22
	ds_write2_b32 v45, v10, v20 offset1:8
	v_and_or_b32 v10, v37, s0, v9
	s_movk_i32 s0, 0x1f0
	v_fma_f32 v27, v28, 2.0, -v21
	v_sub_f32_e32 v28, v29, v11
	v_fma_f32 v11, v46, 2.0, -v22
	v_sub_f32_e32 v23, v52, v23
	v_lshl_add_u32 v20, v10, 2, 0
	v_and_or_b32 v10, v38, s0, v9
	v_sub_f32_e32 v39, v30, v16
	v_fma_f32 v16, v52, 2.0, -v23
	ds_write2_b32 v20, v11, v22 offset1:8
	v_lshl_add_u32 v22, v10, 2, 0
	v_and_or_b32 v10, v47, s0, v9
	s_movk_i32 s0, 0x3f0
	v_sub_f32_e32 v24, v53, v24
	ds_write2_b32 v22, v16, v23 offset1:8
	v_lshl_add_u32 v23, v10, 2, 0
	v_and_or_b32 v10, v48, s0, v9
	s_movk_i32 s0, 0x2f0
	v_sub_f32_e32 v40, v31, v17
	v_fma_f32 v17, v53, 2.0, -v24
	v_sub_f32_e32 v25, v54, v25
	v_sub_f32_e32 v26, v56, v26
	v_and_or_b32 v9, v49, s0, v9
	v_sub_f32_e32 v41, v34, v18
	v_fma_f32 v18, v54, 2.0, -v25
	v_sub_f32_e32 v42, v35, v19
	v_fma_f32 v19, v56, 2.0, -v26
	ds_write2_b32 v23, v17, v24 offset1:8
	v_lshl_add_u32 v24, v10, 2, 0
	v_lshl_add_u32 v9, v9, 2, 0
	v_fma_f32 v29, v29, 2.0, -v28
	v_fma_f32 v30, v30, 2.0, -v39
	;; [unrolled: 1-line block ×5, first 2 shown]
	ds_write2_b32 v24, v18, v25 offset1:8
	ds_write2_b32 v9, v19, v26 offset1:8
	s_waitcnt lgkmcnt(0)
	; wave barrier
	s_waitcnt lgkmcnt(0)
	ds_read2_b32 v[10:11], v6 offset0:80 offset1:136
	ds_read2_b32 v[16:17], v6 offset0:192 offset1:248
	ds_read_b32 v46, v0
	ds_read_b32 v52, v3
	;; [unrolled: 1-line block ×4, first 2 shown]
	ds_read2_b32 v[18:19], v43 offset0:48 offset1:104
	ds_read_b32 v55, v4
	ds_read_b32 v56, v44
	s_waitcnt lgkmcnt(0)
	; wave barrier
	s_waitcnt lgkmcnt(0)
	ds_write2_b32 v45, v27, v21 offset1:8
	ds_write2_b32 v20, v29, v28 offset1:8
	;; [unrolled: 1-line block ×6, first 2 shown]
	v_and_b32_e32 v9, 15, v50
	v_lshlrev_b32_e32 v20, 3, v9
	s_waitcnt lgkmcnt(0)
	; wave barrier
	s_waitcnt lgkmcnt(0)
	global_load_dwordx2 v[20:21], v20, s[4:5] offset:112
	v_and_b32_e32 v39, 15, v51
	v_lshlrev_b32_e32 v22, 3, v39
	global_load_dwordx2 v[22:23], v22, s[4:5] offset:112
	v_and_b32_e32 v40, 15, v33
	v_lshlrev_b32_e32 v24, 3, v40
	global_load_dwordx2 v[24:25], v24, s[4:5] offset:112
	v_lshlrev_b32_e32 v26, 3, v1
	global_load_dwordx2 v[26:27], v26, s[4:5] offset:112
	ds_read_b32 v41, v4
	ds_read2_b32 v[28:29], v6 offset0:80 offset1:136
	ds_read2_b32 v[30:31], v6 offset0:192 offset1:248
	;; [unrolled: 1-line block ×3, first 2 shown]
	ds_read_b32 v42, v0
	ds_read_b32 v43, v3
	;; [unrolled: 1-line block ×5, first 2 shown]
	s_movk_i32 s0, 0x60
	v_and_or_b32 v36, v36, s0, v9
	v_lshl_add_u32 v36, v36, 2, 0
	s_waitcnt lgkmcnt(0)
	; wave barrier
	s_waitcnt vmcnt(3) lgkmcnt(0)
	v_mul_f32_e32 v58, v28, v21
	v_fmac_f32_e32 v58, v10, v20
	v_mul_f32_e32 v10, v10, v21
	v_fma_f32 v10, v28, v20, -v10
	s_waitcnt vmcnt(2)
	v_mul_f32_e32 v28, v29, v23
	v_fmac_f32_e32 v28, v11, v22
	v_mul_f32_e32 v11, v11, v23
	s_waitcnt vmcnt(1)
	v_mul_f32_e32 v23, v31, v25
	v_fmac_f32_e32 v23, v17, v24
	v_mul_f32_e32 v17, v17, v25
	v_fma_f32 v11, v29, v22, -v11
	v_mul_f32_e32 v22, v30, v21
	v_fma_f32 v17, v31, v24, -v17
	v_mul_f32_e32 v24, v34, v21
	v_fmac_f32_e32 v22, v16, v20
	v_mul_f32_e32 v16, v16, v21
	v_fmac_f32_e32 v24, v18, v20
	v_mul_f32_e32 v18, v18, v21
	v_sub_f32_e32 v21, v55, v58
	v_fma_f32 v16, v30, v20, -v16
	v_fma_f32 v18, v34, v20, -v18
	s_waitcnt vmcnt(0)
	v_mul_f32_e32 v20, v35, v27
	v_fma_f32 v25, v55, 2.0, -v21
	v_fmac_f32_e32 v20, v19, v26
	v_mul_f32_e32 v19, v19, v27
	ds_write2_b32 v36, v25, v21 offset1:16
	v_and_or_b32 v21, v37, s1, v39
	s_movk_i32 s1, 0x1e0
	v_fma_f32 v19, v35, v26, -v19
	v_sub_f32_e32 v26, v46, v28
	v_sub_f32_e32 v22, v52, v22
	v_and_or_b32 v25, v38, s1, v9
	v_fma_f32 v27, v46, 2.0, -v26
	v_fma_f32 v30, v52, 2.0, -v22
	v_lshl_add_u32 v21, v21, 2, 0
	v_lshl_add_u32 v37, v25, 2, 0
	ds_write2_b32 v21, v27, v26 offset1:16
	ds_write2_b32 v37, v30, v22 offset1:16
	v_and_or_b32 v22, v47, s1, v40
	s_movk_i32 s1, 0x3e0
	v_and_or_b32 v9, v48, s1, v9
	s_movk_i32 s1, 0x2e0
	v_sub_f32_e32 v10, v41, v10
	v_sub_f32_e32 v16, v43, v16
	;; [unrolled: 1-line block ×5, first 2 shown]
	v_and_or_b32 v1, v49, s1, v1
	v_fma_f32 v29, v41, 2.0, -v10
	v_sub_f32_e32 v11, v42, v11
	v_fma_f32 v31, v43, 2.0, -v16
	v_sub_f32_e32 v17, v45, v17
	;; [unrolled: 2-line block ×4, first 2 shown]
	v_fma_f32 v43, v56, 2.0, -v20
	v_lshl_add_u32 v22, v22, 2, 0
	v_lshl_add_u32 v9, v9, 2, 0
	;; [unrolled: 1-line block ×3, first 2 shown]
	v_add_u32_e32 v30, 0x600, v4
	v_and_b32_e32 v58, 31, v50
	v_fma_f32 v28, v42, 2.0, -v11
	v_fma_f32 v35, v45, 2.0, -v17
	;; [unrolled: 1-line block ×4, first 2 shown]
	ds_write2_b32 v22, v34, v23 offset1:16
	ds_write2_b32 v9, v41, v24 offset1:16
	;; [unrolled: 1-line block ×3, first 2 shown]
	s_waitcnt lgkmcnt(0)
	; wave barrier
	s_waitcnt lgkmcnt(0)
	ds_read2_b32 v[26:27], v6 offset0:136 offset1:192
	ds_read2_b32 v[24:25], v6 offset0:24 offset1:80
	;; [unrolled: 1-line block ×3, first 2 shown]
	ds_read_b32 v56, v0
	ds_read_b32 v52, v3
	ds_read_b32 v45, v4 offset:2464
	ds_read_b32 v57, v4
	ds_read_b32 v34, v8
	ds_read_b32 v53, v7
	s_waitcnt lgkmcnt(0)
	; wave barrier
	s_waitcnt lgkmcnt(0)
	ds_write2_b32 v36, v29, v10 offset1:16
	ds_write2_b32 v21, v28, v11 offset1:16
	;; [unrolled: 1-line block ×6, first 2 shown]
	v_lshlrev_b32_e32 v1, 4, v58
	s_waitcnt lgkmcnt(0)
	; wave barrier
	s_waitcnt lgkmcnt(0)
	global_load_dwordx4 v[16:19], v1, s[4:5] offset:240
	v_lshlrev_b32_e32 v1, 4, v59
	global_load_dwordx4 v[20:23], v1, s[4:5] offset:240
	v_lshlrev_b32_e32 v1, 4, v60
	;; [unrolled: 2-line block ×3, first 2 shown]
	global_load_dwordx4 v[46:49], v1, s[4:5] offset:240
	ds_read_b32 v9, v8
	ds_read2_b32 v[54:55], v6 offset0:136 offset1:192
	ds_read2_b32 v[28:29], v6 offset0:24 offset1:80
	ds_read2_b32 v[42:43], v30 offset0:120 offset1:176
	ds_read_b32 v8, v0
	ds_read_b32 v0, v3
	;; [unrolled: 1-line block ×4, first 2 shown]
	ds_read_b32 v3, v4 offset:2464
	s_waitcnt lgkmcnt(0)
	; wave barrier
	s_waitcnt vmcnt(3) lgkmcnt(0)
	v_mul_f32_e32 v11, v9, v17
	v_mul_f32_e32 v10, v34, v17
	v_fmac_f32_e32 v11, v34, v16
	v_fma_f32 v34, v9, v16, -v10
	v_mul_f32_e32 v9, v27, v19
	s_waitcnt vmcnt(2)
	v_mul_f32_e32 v10, v24, v21
	v_fma_f32 v44, v55, v18, -v9
	v_mul_f32_e32 v9, v28, v21
	v_fma_f32 v31, v28, v20, -v10
	v_mul_f32_e32 v10, v40, v23
	s_waitcnt vmcnt(1)
	v_mul_f32_e32 v16, v25, v37
	v_fmac_f32_e32 v9, v24, v20
	v_mul_f32_e32 v24, v42, v23
	v_fma_f32 v42, v42, v22, -v10
	v_mul_f32_e32 v10, v29, v37
	v_fma_f32 v29, v29, v36, -v16
	;; [unrolled: 2-line block ×3, first 2 shown]
	s_waitcnt vmcnt(0)
	v_mul_f32_e32 v16, v26, v47
	v_mul_f32_e32 v30, v55, v19
	v_fmac_f32_e32 v10, v25, v36
	v_mul_f32_e32 v25, v43, v39
	v_fma_f32 v43, v54, v46, -v16
	v_mul_f32_e32 v16, v45, v49
	v_fmac_f32_e32 v30, v27, v18
	v_fmac_f32_e32 v25, v41, v38
	v_mul_f32_e32 v38, v3, v49
	v_fma_f32 v3, v3, v48, -v16
	v_add_f32_e32 v16, v57, v11
	v_add_f32_e32 v18, v16, v30
	;; [unrolled: 1-line block ×3, first 2 shown]
	v_mul_f32_e32 v28, v54, v47
	v_fmac_f32_e32 v57, -0.5, v16
	v_sub_f32_e32 v16, v34, v44
	v_fmac_f32_e32 v24, v40, v22
	v_fmac_f32_e32 v28, v26, v46
	v_fmamk_f32 v26, v16, 0xbf5db3d7, v57
	v_fmac_f32_e32 v57, 0x3f5db3d7, v16
	v_add_f32_e32 v16, v56, v9
	v_add_f32_e32 v27, v16, v24
	;; [unrolled: 1-line block ×3, first 2 shown]
	v_fmac_f32_e32 v56, -0.5, v16
	v_sub_f32_e32 v16, v31, v42
	v_fmac_f32_e32 v38, v45, v48
	v_fmamk_f32 v36, v16, 0xbf5db3d7, v56
	v_fmac_f32_e32 v56, 0x3f5db3d7, v16
	v_add_f32_e32 v16, v52, v10
	v_add_f32_e32 v17, v53, v28
	;; [unrolled: 1-line block ×6, first 2 shown]
	v_mul_f32_e32 v16, 0.5, v16
	v_mul_f32_e32 v17, 0.5, v17
	v_sub_f32_e32 v20, v29, v35
	v_sub_f32_e32 v21, v43, v3
	v_pk_add_f32 v[22:23], v[52:53], v[16:17] neg_lo:[0,1] neg_hi:[0,1]
	s_nop 0
	v_pk_fma_f32 v[16:17], v[20:21], s[2:3], v[22:23] op_sel_hi:[1,0,1] neg_lo:[1,0,0] neg_hi:[1,0,0]
	v_pk_fma_f32 v[20:21], v[20:21], s[2:3], v[22:23] op_sel_hi:[1,0,1]
	v_lshrrev_b32_e32 v22, 5, v50
	v_mul_u32_u24_e32 v22, 0x60, v22
	v_or_b32_e32 v22, v22, v58
	v_lshl_add_u32 v45, v22, 2, 0
	ds_write2_b32 v45, v18, v26 offset1:32
	ds_write_b32 v45, v57 offset:256
	v_lshrrev_b32_e32 v18, 5, v51
	v_mul_lo_u32 v18, v18, s0
	v_or_b32_e32 v18, v18, v59
	v_lshl_add_u32 v46, v18, 2, 0
	v_lshrrev_b32_e32 v18, 5, v32
	v_mul_lo_u32 v18, v18, s0
	v_or_b32_e32 v18, v18, v60
	v_lshl_add_u32 v47, v18, 2, 0
	;; [unrolled: 4-line block ×3, first 2 shown]
	v_add_u32_e32 v18, 0x200, v4
	ds_write2_b32 v46, v27, v36 offset1:32
	ds_write_b32 v46, v56 offset:256
	ds_write2_b32 v47, v37, v16 offset1:32
	ds_write_b32 v47, v20 offset:256
	;; [unrolled: 2-line block ×3, first 2 shown]
	s_waitcnt lgkmcnt(0)
	; wave barrier
	s_waitcnt lgkmcnt(0)
	ds_read2_b32 v[32:33], v4 offset1:96
	ds_read2_b32 v[40:41], v18 offset0:64 offset1:160
	ds_read2_b32 v[36:37], v6 offset0:128 offset1:224
	ds_read_b32 v39, v4 offset:2304
	v_cmp_gt_u32_e64 s[0:1], 40, v50
	v_cmp_lt_u32_e64 s[2:3], 39, v50
                                        ; implicit-def: $vgpr22_vgpr23
	s_and_saveexec_b64 s[8:9], s[2:3]
	s_xor_b64 s[8:9], exec, s[8:9]
; %bb.14:
	v_mov_b32_e32 v22, v20
	v_mov_b32_e32 v23, v17
; %bb.15:
	s_or_saveexec_b64 s[8:9], s[8:9]
	v_add_u32_e32 v5, v2, v5
                                        ; implicit-def: $vgpr26
	s_xor_b64 exec, exec, s[8:9]
	s_cbranch_execz .LBB0_17
; %bb.16:
	v_add_u32_e32 v2, 0x400, v4
	ds_read_b32 v16, v5
	ds_read2_b32 v[18:19], v4 offset0:152 offset1:248
	ds_read2_b32 v[20:21], v2 offset0:88 offset1:184
	v_add_u32_e32 v2, 0x800, v4
	ds_read2_b32 v[26:27], v2 offset0:24 offset1:120
	s_waitcnt lgkmcnt(2)
	v_mov_b32_e32 v22, v18
	s_waitcnt lgkmcnt(1)
	v_mov_b32_e32 v23, v20
	v_mov_b32_e32 v20, v18
.LBB0_17:
	s_or_b64 exec, exec, s[8:9]
	v_add_f32_e32 v2, v7, v34
	v_add_f32_e32 v6, v2, v44
	;; [unrolled: 1-line block ×3, first 2 shown]
	v_fmac_f32_e32 v7, -0.5, v2
	v_sub_f32_e32 v2, v11, v30
	v_fmamk_f32 v17, v2, 0x3f5db3d7, v7
	v_fmac_f32_e32 v7, 0xbf5db3d7, v2
	v_add_f32_e32 v2, v8, v31
	v_add_f32_e32 v18, v2, v42
	;; [unrolled: 1-line block ×3, first 2 shown]
	v_fmac_f32_e32 v8, -0.5, v2
	v_sub_f32_e32 v2, v9, v24
	v_fmamk_f32 v9, v2, 0x3f5db3d7, v8
	v_fmac_f32_e32 v8, 0xbf5db3d7, v2
	v_add_f32_e32 v2, v0, v29
	v_add_f32_e32 v34, v2, v35
	;; [unrolled: 1-line block ×4, first 2 shown]
	s_mov_b32 s8, 0x3f5db3d7
	v_mul_f32_e32 v24, 0.5, v2
	v_sub_f32_e32 v10, v10, v25
	v_mul_f32_e32 v25, 0.5, v11
	v_sub_f32_e32 v11, v28, v38
	v_add_f32_e32 v2, v1, v43
	v_pk_add_f32 v[0:1], v[0:1], v[24:25] neg_lo:[0,1] neg_hi:[0,1]
	v_pk_mul_f32 v[24:25], v[10:11], s[8:9] op_sel_hi:[1,0]
	v_pk_fma_f32 v[28:29], v[10:11], s[8:9], v[0:1] op_sel_hi:[1,0,1] neg_lo:[1,0,0] neg_hi:[1,0,0]
	v_mov_b32_e32 v25, v2
	v_mov_b32_e32 v2, v0
	v_pk_fma_f32 v[30:31], v[10:11], s[8:9], v[0:1] op_sel_hi:[1,0,1]
	v_add_u32_e32 v0, 0x200, v4
	v_pk_add_f32 v[24:25], v[24:25], v[2:3]
	s_waitcnt lgkmcnt(0)
	; wave barrier
	s_waitcnt lgkmcnt(0)
	ds_write2_b32 v45, v6, v17 offset1:32
	ds_write_b32 v45, v7 offset:256
	ds_write2_b32 v46, v18, v9 offset1:32
	ds_write_b32 v46, v8 offset:256
	ds_write2_b32 v47, v34, v24 offset1:32
	ds_write_b32 v47, v28 offset:256
	ds_write2_b32 v48, v25, v31 offset1:32
	ds_write_b32 v48, v29 offset:256
	s_waitcnt lgkmcnt(0)
	; wave barrier
	s_waitcnt lgkmcnt(0)
	ds_read2_b32 v[48:49], v0 offset0:64 offset1:160
	v_add_u32_e32 v0, 0x400, v4
	ds_read2_b32 v[42:43], v4 offset1:96
	ds_read2_b32 v[44:45], v0 offset0:128 offset1:224
	ds_read_b32 v47, v4 offset:2304
	s_and_saveexec_b64 s[8:9], s[2:3]
	s_xor_b64 s[2:3], exec, s[8:9]
	s_cbranch_execnz .LBB0_21
; %bb.18:
	s_or_saveexec_b64 s[2:3], s[2:3]
                                        ; implicit-def: $vgpr34
	s_xor_b64 exec, exec, s[2:3]
	s_cbranch_execnz .LBB0_22
.LBB0_19:
	s_or_b64 exec, exec, s[2:3]
	s_and_saveexec_b64 s[2:3], vcc
	s_cbranch_execnz .LBB0_23
.LBB0_20:
	s_endpgm
.LBB0_21:
	v_mov_b32_e32 v30, v28
                                        ; implicit-def: $vgpr5
                                        ; implicit-def: $vgpr4
	s_or_saveexec_b64 s[2:3], s[2:3]
                                        ; implicit-def: $vgpr34
	s_xor_b64 exec, exec, s[2:3]
	s_cbranch_execz .LBB0_19
.LBB0_22:
	ds_read2_b32 v[28:29], v4 offset0:152 offset1:248
	v_add_u32_e32 v0, 0x400, v4
	v_add_u32_e32 v2, 0x800, v4
	ds_read2_b32 v[0:1], v0 offset0:88 offset1:184
	ds_read_b32 v24, v5
	ds_read2_b32 v[34:35], v2 offset0:24 offset1:120
	s_waitcnt lgkmcnt(3)
	v_mov_b32_e32 v30, v28
	v_mov_b32_e32 v25, v29
	s_waitcnt lgkmcnt(2)
	v_mov_b32_e32 v31, v0
	v_mov_b32_e32 v29, v1
	s_or_b64 exec, exec, s[2:3]
	s_and_saveexec_b64 s[2:3], vcc
	s_cbranch_execz .LBB0_20
.LBB0_23:
	v_mul_u32_u24_e32 v0, 6, v50
	v_lshlrev_b32_e32 v17, 3, v0
	global_load_dwordx4 v[4:7], v17, s[4:5] offset:784
	global_load_dwordx4 v[0:3], v17, s[4:5] offset:768
	;; [unrolled: 1-line block ×3, first 2 shown]
	v_mul_lo_u32 v17, s7, v14
	v_mul_lo_u32 v38, s6, v15
	v_mad_u64_u32 v[14:15], s[2:3], s6, v14, 0
	s_mov_b32 s2, 0xaaaaaaab
	v_add3_u32 v15, v15, v38, v17
	v_mul_hi_u32 v17, v50, s2
	s_movk_i32 s9, 0x60
	v_lshrrev_b32_e32 v17, 6, v17
	v_mul_lo_u32 v17, v17, s9
	v_lshl_add_u64 v[14:15], v[14:15], 3, s[10:11]
	v_sub_u32_e32 v17, v50, v17
	v_lshl_add_u64 v[12:13], v[12:13], 3, v[14:15]
	v_mad_u64_u32 v[14:15], s[2:3], s16, v17, 0
	v_add_u32_e32 v80, 0x1e0, v17
	v_mov_b32_e32 v38, v15
	v_add_u32_e32 v71, 0x60, v17
	v_add_u32_e32 v78, 0x120, v17
	v_mad_u64_u32 v[66:67], s[2:3], s16, v80, 0
	v_mad_u64_u32 v[68:69], s[2:3], s17, v17, v[38:39]
	v_add_u32_e32 v73, 0xc0, v17
	v_or_b32_e32 v79, 0x180, v17
	v_mad_u64_u32 v[58:59], s[2:3], s16, v71, 0
	v_mad_u64_u32 v[62:63], s[2:3], s16, v78, 0
	v_mov_b32_e32 v15, v68
	v_mov_b32_e32 v68, v67
	v_mad_u64_u32 v[60:61], s[2:3], s16, v73, 0
	v_mad_u64_u32 v[64:65], s[2:3], s16, v79, 0
	v_mov_b32_e32 v38, v59
	v_mov_b32_e32 v70, v63
	v_mad_u64_u32 v[68:69], s[2:3], s17, v80, v[68:69]
	v_mov_b32_e32 v54, v37
	v_mov_b32_e32 v55, v41
	;; [unrolled: 1-line block ×4, first 2 shown]
	v_mad_u64_u32 v[74:75], s[2:3], s17, v71, v[38:39]
	v_mad_u64_u32 v[70:71], s[2:3], s17, v78, v[70:71]
	v_mov_b32_e32 v67, v68
	s_waitcnt lgkmcnt(1)
	v_mov_b32_e32 v18, v45
	v_mov_b32_e32 v52, v45
	v_mov_b32_e32 v53, v49
	v_mov_b32_e32 v56, v40
	v_mov_b32_e32 v57, v36
	s_waitcnt lgkmcnt(0)
	v_mad_u64_u32 v[76:77], s[2:3], s17, v73, v[46:47]
	v_mad_u64_u32 v[72:73], s[2:3], s17, v79, v[72:73]
	v_mov_b32_e32 v63, v70
	v_mov_b32_e32 v59, v74
	;; [unrolled: 1-line block ×4, first 2 shown]
	s_mov_b32 s12, 0xbeae86e6
	s_mov_b32 s13, 0x3f08b237
	;; [unrolled: 1-line block ×6, first 2 shown]
	v_lshl_add_u64 v[14:15], v[14:15], 3, v[12:13]
	s_mov_b32 s18, 0x3f3bfb3b
	s_mov_b32 s20, 0xbf5ff5aa
	s_waitcnt vmcnt(2)
	v_mul_f32_e32 v37, v37, v5
	v_mov_b32_e32 v38, v5
	v_mov_b32_e32 v68, v5
	s_waitcnt vmcnt(1)
	v_mov_b32_e32 v5, v1
	s_waitcnt vmcnt(0)
	v_mul_f32_e32 v46, v40, v11
	v_mov_b32_e32 v69, v0
	v_mov_b32_e32 v40, v11
	;; [unrolled: 1-line block ×4, first 2 shown]
	v_pk_mul_f32 v[54:55], v[54:55], v[4:5]
	v_mul_f32_e32 v73, v33, v8
	v_mov_b32_e32 v75, v8
	v_pk_mul_f32 v[56:57], v[56:57], v[10:11]
	v_fma_f32 v8, v48, v10, -v46
	v_pk_fma_f32 v[10:11], v[18:19], v[38:39], v[54:55]
	v_pk_fma_f32 v[52:53], v[52:53], v[68:69], v[54:55] neg_lo:[0,0,1] neg_hi:[0,0,1]
	v_mov_b32_e32 v54, v48
	v_mov_b32_e32 v55, v44
	;; [unrolled: 1-line block ×3, first 2 shown]
	v_pk_fma_f32 v[54:55], v[54:55], v[70:71], v[56:57] neg_lo:[0,0,1] neg_hi:[0,0,1]
	v_pk_fma_f32 v[56:57], v[48:49], v[40:41], v[56:57]
	v_mov_b32_e32 v38, v41
	v_mov_b32_e32 v40, v1
	;; [unrolled: 1-line block ×5, first 2 shown]
	v_pk_mul_f32 v[0:1], v[38:39], v[0:1]
	v_mul_f32_e32 v5, v47, v7
	v_pk_fma_f32 v[48:49], v[46:47], v[40:41], v[0:1]
	v_pk_fma_f32 v[0:1], v[46:47], v[40:41], v[0:1] neg_lo:[0,0,1] neg_hi:[0,0,1]
	v_mov_b32_e32 v74, v3
	v_mov_b32_e32 v3, v9
	v_fmac_f32_e32 v5, v39, v6
	v_fma_f32 v0, v45, v4, -v37
	v_add_u32_e32 v6, 0x240, v17
	v_mov_b32_e32 v37, v33
	v_pk_mul_f32 v[2:3], v[36:37], v[2:3]
	v_mad_u64_u32 v[36:37], s[2:3], s16, v6, 0
	v_mov_b32_e32 v45, v43
	v_mov_b32_e32 v4, v37
	v_lshl_add_u64 v[46:47], v[58:59], 3, v[12:13]
	v_lshl_add_u64 v[58:59], v[60:61], 3, v[12:13]
	;; [unrolled: 1-line block ×5, first 2 shown]
	v_pk_fma_f32 v[66:67], v[44:45], v[74:75], v[2:3]
	v_pk_fma_f32 v[2:3], v[44:45], v[74:75], v[2:3] neg_lo:[0,0,1] neg_hi:[0,0,1]
	v_mad_u64_u32 v[38:39], s[2:3], s17, v6, v[4:5]
	v_mov_b32_e32 v11, v53
	v_mov_b32_e32 v57, v55
	;; [unrolled: 1-line block ×4, first 2 shown]
	v_fmac_f32_e32 v73, v43, v9
	v_mov_b32_e32 v37, v38
	v_pk_add_f32 v[38:39], v[56:57], v[10:11] neg_lo:[0,1] neg_hi:[0,1]
	v_pk_add_f32 v[2:3], v[66:67], v[48:49]
	v_pk_add_f32 v[10:11], v[56:57], v[10:11]
	v_add_f32_e32 v7, v8, v0
	v_add_f32_e32 v40, v73, v5
	v_mov_b32_e32 v41, v11
	v_mov_b32_e32 v6, v2
	;; [unrolled: 1-line block ×6, first 2 shown]
	v_pk_add_f32 v[44:45], v[40:41], v[6:7] neg_lo:[0,1] neg_hi:[0,1]
	v_mov_b32_e32 v41, v3
	v_mov_b32_e32 v6, v10
	;; [unrolled: 1-line block ×3, first 2 shown]
	v_pk_add_f32 v[42:43], v[66:67], v[48:49] neg_lo:[0,1] neg_hi:[0,1]
	v_pk_add_f32 v[4:5], v[72:73], v[4:5] neg_lo:[0,1] neg_hi:[0,1]
	;; [unrolled: 1-line block ×3, first 2 shown]
	s_mov_b32 s2, 0x3f4a47b2
	v_pk_add_f32 v[56:57], v[2:3], v[10:11] neg_lo:[0,1] neg_hi:[0,1]
	v_mov_b32_e32 v3, v11
	v_pk_add_f32 v[10:11], v[40:41], v[6:7]
	v_mov_b32_e32 v8, v43
	v_mov_b32_e32 v9, v1
	;; [unrolled: 1-line block ×4, first 2 shown]
	s_mov_b32 s3, 0x3d64c772
	v_pk_add_f32 v[2:3], v[2:3], v[10:11]
	v_pk_add_f32 v[8:9], v[8:9], v[48:49] neg_lo:[0,1] neg_hi:[0,1]
	v_pk_add_f32 v[48:49], v[4:5], v[0:1] neg_lo:[0,1] neg_hi:[0,1]
	v_mov_b32_e32 v54, v4
	v_mov_b32_e32 v55, v1
	;; [unrolled: 1-line block ×3, first 2 shown]
	v_pk_mul_f32 v[44:45], v[44:45], s[2:3]
	s_mov_b32 s6, s3
	s_mov_b32 s7, s2
	v_pk_add_f32 v[10:11], v[32:33], v[2:3]
	v_pk_mul_f32 v[8:9], v[8:9], s[12:13]
	v_pk_add_f32 v[38:39], v[54:55], v[0:1]
	v_mov_b32_e32 v4, v43
	v_pk_mul_f32 v[68:69], v[56:57], s[6:7]
	v_pk_fma_f32 v[56:57], v[56:57], s[6:7], v[44:45]
	v_pk_fma_f32 v[2:3], v[2:3], s[8:9], v[10:11] op_sel_hi:[1,0,1]
	v_pk_mul_f32 v[52:53], v[48:49], s[14:15]
	v_pk_fma_f32 v[48:49], v[48:49], s[14:15], v[8:9]
	v_pk_add_f32 v[38:39], v[4:5], v[38:39]
	v_pk_add_f32 v[32:33], v[56:57], v[2:3]
	v_pk_fma_f32 v[42:43], v[38:39], s[10:11], v[48:49] op_sel_hi:[1,0,1]
	global_store_dwordx2 v[14:15], v[10:11], off
	v_pk_add_f32 v[48:49], v[32:33], v[42:43] neg_lo:[0,1] neg_hi:[0,1]
	v_pk_add_f32 v[32:33], v[32:33], v[42:43]
	v_mov_b32_e32 v11, v49
	v_mov_b32_e32 v10, v32
	global_store_dwordx2 v[46:47], v[10:11], off
	v_mov_b32_e32 v10, v44
	v_mov_b32_e32 v11, v69
	v_pk_add_f32 v[6:7], v[6:7], v[40:41] neg_lo:[0,1] neg_hi:[0,1]
	v_pk_add_f32 v[0:1], v[0:1], v[4:5] neg_lo:[0,1] neg_hi:[0,1]
	v_mov_b32_e32 v4, v8
	v_mov_b32_e32 v5, v53
	;; [unrolled: 1-line block ×4, first 2 shown]
	v_pk_fma_f32 v[10:11], v[6:7], s[18:19], v[10:11] op_sel_hi:[1,0,1] neg_lo:[1,0,1] neg_hi:[1,0,1]
	v_pk_fma_f32 v[4:5], v[0:1], s[20:21], v[4:5] op_sel_hi:[1,0,1] neg_lo:[1,0,1] neg_hi:[1,0,1]
	;; [unrolled: 1-line block ×4, first 2 shown]
	v_pk_add_f32 v[10:11], v[10:11], v[2:3]
	v_pk_fma_f32 v[0:1], v[38:39], s[10:11], v[0:1] op_sel_hi:[1,0,1]
	v_pk_add_f32 v[2:3], v[6:7], v[2:3]
	v_pk_fma_f32 v[4:5], v[38:39], s[10:11], v[4:5] op_sel_hi:[1,0,1]
	v_pk_add_f32 v[6:7], v[2:3], v[0:1]
	v_pk_add_f32 v[0:1], v[2:3], v[0:1] neg_lo:[0,1] neg_hi:[0,1]
	v_pk_add_f32 v[14:15], v[10:11], v[4:5] neg_lo:[0,1] neg_hi:[0,1]
	v_pk_add_f32 v[4:5], v[10:11], v[4:5]
	v_mov_b32_e32 v2, v0
	v_add_u32_e32 v0, 56, v50
	v_lshl_add_u64 v[36:37], v[36:37], 3, v[12:13]
	v_mov_b32_e32 v10, v4
	v_mov_b32_e32 v11, v15
	;; [unrolled: 1-line block ×6, first 2 shown]
	v_cmp_gt_u32_e32 vcc, s9, v0
	global_store_dwordx2 v[58:59], v[10:11], off
	global_store_dwordx2 v[60:61], v[2:3], off
	;; [unrolled: 1-line block ×5, first 2 shown]
	s_and_b64 exec, exec, vcc
	s_cbranch_execz .LBB0_20
; %bb.24:
	v_subrev_u32_e32 v1, 40, v50
	v_cndmask_b32_e64 v1, v1, v51, s[0:1]
	v_mul_i32_i24_e32 v2, 6, v1
	v_mov_b32_e32 v3, 0
	v_lshl_add_u64 v[10:11], v[2:3], 3, s[4:5]
	global_load_dwordx4 v[2:5], v[10:11], off offset:752
	global_load_dwordx4 v[6:9], v[10:11], off offset:768
	;; [unrolled: 1-line block ×3, first 2 shown]
	v_mov_b32_e32 v11, v21
	v_mov_b32_e32 v46, v21
	;; [unrolled: 1-line block ×14, first 2 shown]
	s_waitcnt vmcnt(2)
	v_mov_b32_e32 v48, v5
	s_waitcnt vmcnt(1)
	v_mov_b32_e32 v49, v6
	s_waitcnt vmcnt(0)
	v_mul_f32_e32 v21, v34, v37
	v_mov_b32_e32 v53, v36
	v_mul_f32_e32 v1, v20, v3
	v_mov_b32_e32 v20, v7
	v_mov_b32_e32 v54, v7
	;; [unrolled: 1-line block ×7, first 2 shown]
	v_fmac_f32_e32 v21, v26, v36
	v_mov_b32_e32 v36, v8
	v_mov_b32_e32 v52, v9
	v_mul_f32_e32 v17, v27, v39
	v_mul_f32_e32 v5, v25, v5
	v_mov_b32_e32 v55, v4
	v_mov_b32_e32 v58, v39
	;; [unrolled: 1-line block ×3, first 2 shown]
	v_fma_f32 v28, v28, v2, -v1
	v_pk_mul_f32 v[32:33], v[32:33], v[48:49]
	v_pk_mul_f32 v[2:3], v[22:23], v[2:3]
	;; [unrolled: 1-line block ×4, first 2 shown]
	v_fmac_f32_e32 v5, v19, v4
	v_pk_fma_f32 v[10:11], v[18:19], v[20:21], v[32:33] op_sel:[0,0,1] op_sel_hi:[1,1,0]
	v_pk_fma_f32 v[18:19], v[40:41], v[54:55], v[32:33] op_sel:[0,0,1] op_sel_hi:[1,1,0] neg_lo:[0,0,1] neg_hi:[0,0,1]
	v_pk_fma_f32 v[22:23], v[30:31], v[56:57], v[2:3]
	v_pk_fma_f32 v[2:3], v[30:31], v[56:57], v[2:3] neg_lo:[0,0,1] neg_hi:[0,0,1]
	v_pk_fma_f32 v[30:31], v[14:15], v[58:59], v[6:7]
	v_pk_fma_f32 v[6:7], v[14:15], v[58:59], v[6:7] neg_lo:[0,0,1] neg_hi:[0,0,1]
	v_pk_fma_f32 v[14:15], v[42:43], v[52:53], v[26:27] op_sel_hi:[0,1,1]
	v_pk_fma_f32 v[26:27], v[44:45], v[52:53], v[26:27] neg_lo:[0,0,1] neg_hi:[0,0,1]
	v_fma_f32 v34, v35, v38, -v17
	v_mov_b32_e32 v11, v19
	v_mov_b32_e32 v23, v3
	;; [unrolled: 1-line block ×12, first 2 shown]
	v_add_f32_e32 v9, v28, v34
	v_add_f32_e32 v2, v5, v21
	v_pk_add_f32 v[28:29], v[28:29], v[34:35] neg_lo:[0,1] neg_hi:[0,1]
	v_pk_add_f32 v[22:23], v[22:23], v[30:31]
	v_pk_add_f32 v[4:5], v[4:5], v[20:21] neg_lo:[0,1] neg_hi:[0,1]
	v_pk_add_f32 v[10:11], v[10:11], v[14:15]
	v_pk_add_f32 v[6:7], v[6:7], v[18:19] neg_lo:[0,1] neg_hi:[0,1]
	v_mov_b32_e32 v33, v9
	v_mov_b32_e32 v26, v2
	;; [unrolled: 1-line block ×8, first 2 shown]
	v_pk_add_f32 v[30:31], v[6:7], v[4:5]
	v_mov_b32_e32 v14, v6
	v_mov_b32_e32 v34, v4
	;; [unrolled: 1-line block ×5, first 2 shown]
	v_pk_add_f32 v[20:21], v[22:23], v[10:11] neg_lo:[0,1] neg_hi:[0,1]
	v_pk_add_f32 v[36:37], v[2:3], v[8:9]
	v_pk_add_f32 v[26:27], v[32:33], v[26:27] neg_lo:[0,1] neg_hi:[0,1]
	v_pk_add_f32 v[14:15], v[14:15], v[34:35] neg_lo:[0,1] neg_hi:[0,1]
	;; [unrolled: 1-line block ×3, first 2 shown]
	v_mov_b32_e32 v11, v23
	v_pk_add_f32 v[10:11], v[10:11], v[36:37]
	v_mov_b32_e32 v17, v24
	v_pk_mul_f32 v[22:23], v[26:27], s[6:7]
	v_pk_mul_f32 v[24:25], v[20:21], s[2:3]
	;; [unrolled: 1-line block ×4, first 2 shown]
	v_pk_add_f32 v[18:19], v[30:31], v[28:29]
	v_pk_add_f32 v[16:17], v[16:17], v[10:11]
	v_pk_fma_f32 v[20:21], v[20:21], s[2:3], v[22:23]
	v_pk_fma_f32 v[6:7], v[6:7], s[12:13], v[14:15]
	v_pk_add_f32 v[2:3], v[2:3], v[8:9] neg_lo:[0,1] neg_hi:[0,1]
	v_pk_add_f32 v[4:5], v[4:5], v[28:29] neg_lo:[0,1] neg_hi:[0,1]
	v_mov_b32_e32 v8, v24
	v_mov_b32_e32 v9, v23
	v_mov_b32_e32 v28, v26
	v_mov_b32_e32 v29, v15
	v_mov_b32_e32 v23, v25
	v_mov_b32_e32 v15, v27
	v_pk_fma_f32 v[10:11], v[10:11], s[8:9], v[16:17] op_sel_hi:[1,0,1]
	v_pk_fma_f32 v[8:9], v[2:3], s[18:19], v[8:9] op_sel_hi:[1,0,1] neg_lo:[1,0,1] neg_hi:[1,0,1]
	v_pk_fma_f32 v[28:29], v[4:5], s[20:21], v[28:29] op_sel_hi:[1,0,1] neg_lo:[1,0,1] neg_hi:[1,0,1]
	;; [unrolled: 1-line block ×4, first 2 shown]
	v_pk_add_f32 v[20:21], v[20:21], v[10:11]
	v_pk_add_f32 v[8:9], v[8:9], v[10:11]
	;; [unrolled: 1-line block ×3, first 2 shown]
	v_pk_fma_f32 v[4:5], v[18:19], s[10:11], v[4:5] op_sel_hi:[1,0,1]
	v_pk_fma_f32 v[10:11], v[18:19], s[10:11], v[28:29] op_sel_hi:[1,0,1]
	;; [unrolled: 1-line block ×3, first 2 shown]
	v_pk_add_f32 v[18:19], v[8:9], v[10:11]
	v_pk_add_f32 v[8:9], v[8:9], v[10:11] neg_lo:[0,1] neg_hi:[0,1]
	v_pk_add_f32 v[10:11], v[2:3], v[4:5] neg_lo:[0,1] neg_hi:[0,1]
	v_pk_add_f32 v[2:3], v[2:3], v[4:5]
	v_mad_u64_u32 v[4:5], s[0:1], s16, v0, 0
	v_pk_add_f32 v[14:15], v[20:21], v[6:7]
	v_pk_add_f32 v[6:7], v[20:21], v[6:7] neg_lo:[0,1] neg_hi:[0,1]
	v_mov_b32_e32 v20, v5
	v_mad_u64_u32 v[0:1], s[0:1], s17, v0, v[20:21]
	v_mov_b32_e32 v5, v0
	v_lshl_add_u64 v[0:1], v[4:5], 3, v[12:13]
	v_add_u32_e32 v5, 0x98, v50
	global_store_dwordx2 v[0:1], v[16:17], off
	v_mad_u64_u32 v[0:1], s[0:1], s16, v5, 0
	v_mov_b32_e32 v4, v1
	v_mad_u64_u32 v[4:5], s[0:1], s17, v5, v[4:5]
	v_mov_b32_e32 v1, v4
	v_lshl_add_u64 v[0:1], v[0:1], 3, v[12:13]
	v_mov_b32_e32 v4, v14
	v_mov_b32_e32 v5, v7
	global_store_dwordx2 v[0:1], v[4:5], off
	v_add_u32_e32 v5, 0xf8, v50
	v_mad_u64_u32 v[0:1], s[0:1], s16, v5, 0
	v_mov_b32_e32 v4, v1
	v_mad_u64_u32 v[4:5], s[0:1], s17, v5, v[4:5]
	v_mov_b32_e32 v1, v4
	v_lshl_add_u64 v[0:1], v[0:1], 3, v[12:13]
	v_mov_b32_e32 v4, v18
	v_mov_b32_e32 v5, v9
	global_store_dwordx2 v[0:1], v[4:5], off
	v_add_u32_e32 v5, 0x158, v50
	v_mad_u64_u32 v[0:1], s[0:1], s16, v5, 0
	v_mov_b32_e32 v4, v1
	v_mad_u64_u32 v[4:5], s[0:1], s17, v5, v[4:5]
	v_mov_b32_e32 v1, v4
	v_lshl_add_u64 v[0:1], v[0:1], 3, v[12:13]
	v_mov_b32_e32 v4, v10
	v_mov_b32_e32 v5, v3
	v_add_u32_e32 v3, 0x1b8, v50
	global_store_dwordx2 v[0:1], v[4:5], off
	v_mad_u64_u32 v[0:1], s[0:1], s16, v3, 0
	v_mov_b32_e32 v4, v1
	v_mad_u64_u32 v[4:5], s[0:1], s17, v3, v[4:5]
	v_mov_b32_e32 v1, v4
	v_lshl_add_u64 v[0:1], v[0:1], 3, v[12:13]
	v_mov_b32_e32 v3, v11
	global_store_dwordx2 v[0:1], v[2:3], off
	v_add_u32_e32 v3, 0x218, v50
	v_mad_u64_u32 v[0:1], s[0:1], s16, v3, 0
	v_mov_b32_e32 v2, v1
	v_mad_u64_u32 v[2:3], s[0:1], s17, v3, v[2:3]
	v_mov_b32_e32 v1, v2
	v_lshl_add_u64 v[0:1], v[0:1], 3, v[12:13]
	v_mov_b32_e32 v9, v19
	v_add_u32_e32 v3, 0x278, v50
	global_store_dwordx2 v[0:1], v[8:9], off
	v_mad_u64_u32 v[0:1], s[0:1], s16, v3, 0
	v_mov_b32_e32 v2, v1
	v_mad_u64_u32 v[2:3], s[0:1], s17, v3, v[2:3]
	v_mov_b32_e32 v1, v2
	v_lshl_add_u64 v[0:1], v[0:1], 3, v[12:13]
	v_mov_b32_e32 v7, v15
	global_store_dwordx2 v[0:1], v[6:7], off
	s_endpgm
	.section	.rodata,"a",@progbits
	.p2align	6, 0x0
	.amdhsa_kernel fft_rtc_back_len672_factors_2_2_2_2_2_3_7_wgs_56_tpt_56_halfLds_sp_op_CI_CI_sbrr_dirReg
		.amdhsa_group_segment_fixed_size 0
		.amdhsa_private_segment_fixed_size 0
		.amdhsa_kernarg_size 104
		.amdhsa_user_sgpr_count 2
		.amdhsa_user_sgpr_dispatch_ptr 0
		.amdhsa_user_sgpr_queue_ptr 0
		.amdhsa_user_sgpr_kernarg_segment_ptr 1
		.amdhsa_user_sgpr_dispatch_id 0
		.amdhsa_user_sgpr_kernarg_preload_length 0
		.amdhsa_user_sgpr_kernarg_preload_offset 0
		.amdhsa_user_sgpr_private_segment_size 0
		.amdhsa_uses_dynamic_stack 0
		.amdhsa_enable_private_segment 0
		.amdhsa_system_sgpr_workgroup_id_x 1
		.amdhsa_system_sgpr_workgroup_id_y 0
		.amdhsa_system_sgpr_workgroup_id_z 0
		.amdhsa_system_sgpr_workgroup_info 0
		.amdhsa_system_vgpr_workitem_id 0
		.amdhsa_next_free_vgpr 81
		.amdhsa_next_free_sgpr 32
		.amdhsa_accum_offset 84
		.amdhsa_reserve_vcc 1
		.amdhsa_float_round_mode_32 0
		.amdhsa_float_round_mode_16_64 0
		.amdhsa_float_denorm_mode_32 3
		.amdhsa_float_denorm_mode_16_64 3
		.amdhsa_dx10_clamp 1
		.amdhsa_ieee_mode 1
		.amdhsa_fp16_overflow 0
		.amdhsa_tg_split 0
		.amdhsa_exception_fp_ieee_invalid_op 0
		.amdhsa_exception_fp_denorm_src 0
		.amdhsa_exception_fp_ieee_div_zero 0
		.amdhsa_exception_fp_ieee_overflow 0
		.amdhsa_exception_fp_ieee_underflow 0
		.amdhsa_exception_fp_ieee_inexact 0
		.amdhsa_exception_int_div_zero 0
	.end_amdhsa_kernel
	.text
.Lfunc_end0:
	.size	fft_rtc_back_len672_factors_2_2_2_2_2_3_7_wgs_56_tpt_56_halfLds_sp_op_CI_CI_sbrr_dirReg, .Lfunc_end0-fft_rtc_back_len672_factors_2_2_2_2_2_3_7_wgs_56_tpt_56_halfLds_sp_op_CI_CI_sbrr_dirReg
                                        ; -- End function
	.section	.AMDGPU.csdata,"",@progbits
; Kernel info:
; codeLenInByte = 8864
; NumSgprs: 38
; NumVgprs: 81
; NumAgprs: 0
; TotalNumVgprs: 81
; ScratchSize: 0
; MemoryBound: 0
; FloatMode: 240
; IeeeMode: 1
; LDSByteSize: 0 bytes/workgroup (compile time only)
; SGPRBlocks: 4
; VGPRBlocks: 10
; NumSGPRsForWavesPerEU: 38
; NumVGPRsForWavesPerEU: 81
; AccumOffset: 84
; Occupancy: 5
; WaveLimiterHint : 1
; COMPUTE_PGM_RSRC2:SCRATCH_EN: 0
; COMPUTE_PGM_RSRC2:USER_SGPR: 2
; COMPUTE_PGM_RSRC2:TRAP_HANDLER: 0
; COMPUTE_PGM_RSRC2:TGID_X_EN: 1
; COMPUTE_PGM_RSRC2:TGID_Y_EN: 0
; COMPUTE_PGM_RSRC2:TGID_Z_EN: 0
; COMPUTE_PGM_RSRC2:TIDIG_COMP_CNT: 0
; COMPUTE_PGM_RSRC3_GFX90A:ACCUM_OFFSET: 20
; COMPUTE_PGM_RSRC3_GFX90A:TG_SPLIT: 0
	.text
	.p2alignl 6, 3212836864
	.fill 256, 4, 3212836864
	.type	__hip_cuid_378effa15847fa,@object ; @__hip_cuid_378effa15847fa
	.section	.bss,"aw",@nobits
	.globl	__hip_cuid_378effa15847fa
__hip_cuid_378effa15847fa:
	.byte	0                               ; 0x0
	.size	__hip_cuid_378effa15847fa, 1

	.ident	"AMD clang version 19.0.0git (https://github.com/RadeonOpenCompute/llvm-project roc-6.4.0 25133 c7fe45cf4b819c5991fe208aaa96edf142730f1d)"
	.section	".note.GNU-stack","",@progbits
	.addrsig
	.addrsig_sym __hip_cuid_378effa15847fa
	.amdgpu_metadata
---
amdhsa.kernels:
  - .agpr_count:     0
    .args:
      - .actual_access:  read_only
        .address_space:  global
        .offset:         0
        .size:           8
        .value_kind:     global_buffer
      - .offset:         8
        .size:           8
        .value_kind:     by_value
      - .actual_access:  read_only
        .address_space:  global
        .offset:         16
        .size:           8
        .value_kind:     global_buffer
      - .actual_access:  read_only
        .address_space:  global
        .offset:         24
        .size:           8
        .value_kind:     global_buffer
      - .actual_access:  read_only
        .address_space:  global
        .offset:         32
        .size:           8
        .value_kind:     global_buffer
      - .offset:         40
        .size:           8
        .value_kind:     by_value
      - .actual_access:  read_only
        .address_space:  global
        .offset:         48
        .size:           8
        .value_kind:     global_buffer
      - .actual_access:  read_only
        .address_space:  global
        .offset:         56
        .size:           8
        .value_kind:     global_buffer
      - .offset:         64
        .size:           4
        .value_kind:     by_value
      - .actual_access:  read_only
        .address_space:  global
        .offset:         72
        .size:           8
        .value_kind:     global_buffer
      - .actual_access:  read_only
        .address_space:  global
        .offset:         80
        .size:           8
        .value_kind:     global_buffer
      - .actual_access:  read_only
        .address_space:  global
        .offset:         88
        .size:           8
        .value_kind:     global_buffer
      - .actual_access:  write_only
        .address_space:  global
        .offset:         96
        .size:           8
        .value_kind:     global_buffer
    .group_segment_fixed_size: 0
    .kernarg_segment_align: 8
    .kernarg_segment_size: 104
    .language:       OpenCL C
    .language_version:
      - 2
      - 0
    .max_flat_workgroup_size: 56
    .name:           fft_rtc_back_len672_factors_2_2_2_2_2_3_7_wgs_56_tpt_56_halfLds_sp_op_CI_CI_sbrr_dirReg
    .private_segment_fixed_size: 0
    .sgpr_count:     38
    .sgpr_spill_count: 0
    .symbol:         fft_rtc_back_len672_factors_2_2_2_2_2_3_7_wgs_56_tpt_56_halfLds_sp_op_CI_CI_sbrr_dirReg.kd
    .uniform_work_group_size: 1
    .uses_dynamic_stack: false
    .vgpr_count:     81
    .vgpr_spill_count: 0
    .wavefront_size: 64
amdhsa.target:   amdgcn-amd-amdhsa--gfx950
amdhsa.version:
  - 1
  - 2
...

	.end_amdgpu_metadata
